;; amdgpu-corpus repo=ROCm/rocm-examples kind=compiled arch=gfx90a opt=O3
	.text
	.amdgcn_target "amdgcn-amd-amdhsa--gfx90a"
	.amdhsa_code_object_version 6
	.protected	_Z15sgemm_rocwmma_djjjPKfS0_S0_Pfjjjjff ; -- Begin function _Z15sgemm_rocwmma_djjjPKfS0_S0_Pfjjjjff
	.globl	_Z15sgemm_rocwmma_djjjPKfS0_S0_Pfjjjjff
	.p2align	8
	.type	_Z15sgemm_rocwmma_djjjPKfS0_S0_Pfjjjjff,@function
_Z15sgemm_rocwmma_djjjPKfS0_S0_Pfjjjjff: ; @_Z15sgemm_rocwmma_djjjPKfS0_S0_Pfjjjjff
; %bb.0:
	s_load_dword s0, s[4:5], 0x54
	s_load_dwordx4 s[16:19], s[4:5], 0x0
	v_and_b32_e32 v1, 0x3ff, v0
	v_bfe_u32 v0, v0, 10, 10
	s_waitcnt lgkmcnt(0)
	s_lshr_b32 s1, s0, 16
	s_and_b32 s0, s0, 0xffff
	s_mul_i32 s6, s6, s0
	v_add_u32_e32 v2, s6, v1
	s_mul_i32 s7, s7, s1
	v_lshrrev_b32_e32 v2, 2, v2
	v_and_b32_e32 v5, 0x3ffffff0, v2
	v_add_lshl_u32 v4, s7, v0, 4
	v_cmp_gt_u32_e32 vcc, s16, v5
	v_cmp_gt_u32_e64 s[0:1], s17, v4
	s_and_b64 s[0:1], vcc, s[0:1]
	s_and_saveexec_b64 s[2:3], s[0:1]
	s_cbranch_execz .LBB0_7
; %bb.1:
	s_load_dwordx8 s[8:15], s[4:5], 0x10
	s_load_dwordx4 s[0:3], s[4:5], 0x30
	s_load_dwordx2 s[6:7], s[4:5], 0x40
	s_cmp_lg_u32 s18, 0
	v_and_b32_e32 v7, 15, v1
	v_lshrrev_b32_e32 v9, 2, v1
	s_cbranch_scc0 .LBB0_8
; %bb.2:
	v_and_b32_e32 v8, 15, v1
	v_and_b32_e32 v6, 12, v9
	s_waitcnt lgkmcnt(0)
	v_mad_u64_u32 v[10:11], s[4:5], v8, s0, v[6:7]
	v_mov_b32_e32 v11, 0
	v_lshlrev_b64 v[0:1], 2, v[10:11]
	v_mov_b32_e32 v2, s9
	v_add_co_u32_e32 v13, vcc, s8, v0
	v_mul_lo_u32 v12, v5, s0
	v_addc_co_u32_e32 v14, vcc, v2, v1, vcc
	v_mul_lo_u32 v15, v4, s1
	v_mad_u64_u32 v[0:1], s[0:1], v8, s1, v[6:7]
	v_mov_b32_e32 v1, v11
	v_lshlrev_b64 v[0:1], 2, v[0:1]
	v_mov_b32_e32 v2, s11
	v_add_co_u32_e32 v16, vcc, s10, v0
	v_addc_co_u32_e32 v17, vcc, v2, v1, vcc
	s_mov_b32 s0, 0
	v_mov_b32_e32 v0, v11
	v_mov_b32_e32 v1, v11
	;; [unrolled: 1-line block ×4, first 2 shown]
.LBB0_3:                                ; =>This Inner Loop Header: Depth=1
	v_add_u32_e32 v10, s0, v12
	v_lshlrev_b64 v[18:19], 2, v[10:11]
	v_add_co_u32_e32 v18, vcc, v13, v18
	v_addc_co_u32_e32 v19, vcc, v14, v19, vcc
	v_add_u32_e32 v10, s0, v15
	global_load_dwordx4 v[18:21], v[18:19], off
	v_lshlrev_b64 v[22:23], 2, v[10:11]
	v_add_co_u32_e32 v22, vcc, v16, v22
	v_addc_co_u32_e32 v23, vcc, v17, v23, vcc
	global_load_dwordx4 v[22:25], v[22:23], off
	s_add_i32 s0, s0, 16
	s_cmp_ge_u32 s0, s18
	s_waitcnt vmcnt(0)
	v_mfma_f32_16x16x4f32 v[0:3], v18, v22, v[0:3]
	v_mfma_f32_16x16x4f32 v[0:3], v19, v23, v[0:3]
	v_mfma_f32_16x16x4f32 v[0:3], v20, v24, v[0:3]
	v_mfma_f32_16x16x4f32 v[0:3], v21, v25, v[0:3]
	s_cbranch_scc0 .LBB0_3
; %bb.4:
	s_branch .LBB0_6
.LBB0_5:
	v_mov_b32_e32 v0, 0
	v_and_b32_e32 v6, 12, v9
	v_mov_b32_e32 v8, v7
	v_mov_b32_e32 v1, v0
	v_mov_b32_e32 v2, v0
	v_mov_b32_e32 v3, v0
.LBB0_6:
	v_mad_u64_u32 v[10:11], s[0:1], v5, s2, v[4:5]
	v_mov_b32_e32 v11, 0
	v_lshlrev_b64 v[12:13], 2, v[10:11]
	v_mov_b32_e32 v7, s13
	v_add_co_u32_e32 v9, vcc, s12, v12
	v_addc_co_u32_e32 v7, vcc, v7, v13, vcc
	v_mad_u64_u32 v[12:13], s[0:1], v6, s2, v[8:9]
	v_mov_b32_e32 v13, v11
	v_lshlrev_b64 v[14:15], 2, v[12:13]
	v_add_co_u32_e32 v14, vcc, v9, v14
	v_add_u32_e32 v10, s2, v12
	v_addc_co_u32_e32 v15, vcc, v7, v15, vcc
	v_lshlrev_b64 v[12:13], 2, v[10:11]
	v_add_co_u32_e32 v12, vcc, v9, v12
	v_add_u32_e32 v10, s2, v10
	v_addc_co_u32_e32 v13, vcc, v7, v13, vcc
	;; [unrolled: 4-line block ×3, first 2 shown]
	global_load_dword v18, v[14:15], off
	global_load_dword v19, v[12:13], off
	;; [unrolled: 1-line block ×3, first 2 shown]
	v_lshlrev_b64 v[12:13], 2, v[10:11]
	v_add_co_u32_e32 v12, vcc, v9, v12
	v_addc_co_u32_e32 v13, vcc, v7, v13, vcc
	global_load_dword v12, v[12:13], off
	v_mad_u64_u32 v[4:5], s[0:1], v5, s3, v[4:5]
	v_mov_b32_e32 v5, v11
	v_mad_u64_u32 v[6:7], s[0:1], v6, s3, v[8:9]
	v_lshlrev_b64 v[4:5], 2, v[4:5]
	v_mov_b32_e32 v10, s15
	v_mov_b32_e32 v7, v11
	v_add_co_u32_e32 v13, vcc, s14, v4
	v_lshlrev_b64 v[8:9], 2, v[6:7]
	v_addc_co_u32_e32 v14, vcc, v10, v5, vcc
	v_add_co_u32_e32 v4, vcc, v13, v8
	v_add_u32_e32 v10, s3, v6
	v_addc_co_u32_e32 v5, vcc, v14, v9, vcc
	v_lshlrev_b64 v[6:7], 2, v[10:11]
	v_add_u32_e32 v10, s3, v10
	v_add_co_u32_e32 v6, vcc, v13, v6
	v_addc_co_u32_e32 v7, vcc, v14, v7, vcc
	v_lshlrev_b64 v[8:9], 2, v[10:11]
	v_add_u32_e32 v10, s3, v10
	v_add_co_u32_e32 v8, vcc, v13, v8
	v_addc_co_u32_e32 v9, vcc, v14, v9, vcc
	v_lshlrev_b64 v[10:11], 2, v[10:11]
	s_waitcnt vmcnt(3)
	v_mul_f32_e32 v15, s7, v18
	v_fmac_f32_e32 v15, s6, v0
	s_waitcnt vmcnt(1)
	v_mul_f32_e32 v0, s7, v20
	v_mul_f32_e32 v16, s7, v19
	v_fmac_f32_e32 v0, s6, v2
	v_fmac_f32_e32 v16, s6, v1
	global_store_dword v[4:5], v15, off
	global_store_dword v[6:7], v16, off
	;; [unrolled: 1-line block ×3, first 2 shown]
	s_waitcnt vmcnt(3)
	v_mul_f32_e32 v2, s7, v12
	v_add_co_u32_e32 v0, vcc, v13, v10
	v_fmac_f32_e32 v2, s6, v3
	v_addc_co_u32_e32 v1, vcc, v14, v11, vcc
	global_store_dword v[0:1], v2, off
.LBB0_7:
	s_endpgm
.LBB0_8:
	s_waitcnt lgkmcnt(0)
                                        ; implicit-def: $vgpr3
                                        ; implicit-def: $vgpr8
                                        ; implicit-def: $vgpr6
	s_cbranch_execnz .LBB0_5
	s_branch .LBB0_6
	.section	.rodata,"a",@progbits
	.p2align	6, 0x0
	.amdhsa_kernel _Z15sgemm_rocwmma_djjjPKfS0_S0_Pfjjjjff
		.amdhsa_group_segment_fixed_size 0
		.amdhsa_private_segment_fixed_size 0
		.amdhsa_kernarg_size 328
		.amdhsa_user_sgpr_count 6
		.amdhsa_user_sgpr_private_segment_buffer 1
		.amdhsa_user_sgpr_dispatch_ptr 0
		.amdhsa_user_sgpr_queue_ptr 0
		.amdhsa_user_sgpr_kernarg_segment_ptr 1
		.amdhsa_user_sgpr_dispatch_id 0
		.amdhsa_user_sgpr_flat_scratch_init 0
		.amdhsa_user_sgpr_kernarg_preload_length 0
		.amdhsa_user_sgpr_kernarg_preload_offset 0
		.amdhsa_user_sgpr_private_segment_size 0
		.amdhsa_uses_dynamic_stack 0
		.amdhsa_system_sgpr_private_segment_wavefront_offset 0
		.amdhsa_system_sgpr_workgroup_id_x 1
		.amdhsa_system_sgpr_workgroup_id_y 1
		.amdhsa_system_sgpr_workgroup_id_z 0
		.amdhsa_system_sgpr_workgroup_info 0
		.amdhsa_system_vgpr_workitem_id 1
		.amdhsa_next_free_vgpr 26
		.amdhsa_next_free_sgpr 20
		.amdhsa_accum_offset 28
		.amdhsa_reserve_vcc 1
		.amdhsa_reserve_flat_scratch 0
		.amdhsa_float_round_mode_32 0
		.amdhsa_float_round_mode_16_64 0
		.amdhsa_float_denorm_mode_32 3
		.amdhsa_float_denorm_mode_16_64 3
		.amdhsa_dx10_clamp 1
		.amdhsa_ieee_mode 1
		.amdhsa_fp16_overflow 0
		.amdhsa_tg_split 0
		.amdhsa_exception_fp_ieee_invalid_op 0
		.amdhsa_exception_fp_denorm_src 0
		.amdhsa_exception_fp_ieee_div_zero 0
		.amdhsa_exception_fp_ieee_overflow 0
		.amdhsa_exception_fp_ieee_underflow 0
		.amdhsa_exception_fp_ieee_inexact 0
		.amdhsa_exception_int_div_zero 0
	.end_amdhsa_kernel
	.text
.Lfunc_end0:
	.size	_Z15sgemm_rocwmma_djjjPKfS0_S0_Pfjjjjff, .Lfunc_end0-_Z15sgemm_rocwmma_djjjPKfS0_S0_Pfjjjjff
                                        ; -- End function
	.section	.AMDGPU.csdata,"",@progbits
; Kernel info:
; codeLenInByte = 752
; NumSgprs: 24
; NumVgprs: 26
; NumAgprs: 0
; TotalNumVgprs: 26
; ScratchSize: 0
; MemoryBound: 0
; FloatMode: 240
; IeeeMode: 1
; LDSByteSize: 0 bytes/workgroup (compile time only)
; SGPRBlocks: 2
; VGPRBlocks: 3
; NumSGPRsForWavesPerEU: 24
; NumVGPRsForWavesPerEU: 26
; AccumOffset: 28
; Occupancy: 8
; WaveLimiterHint : 0
; COMPUTE_PGM_RSRC2:SCRATCH_EN: 0
; COMPUTE_PGM_RSRC2:USER_SGPR: 6
; COMPUTE_PGM_RSRC2:TRAP_HANDLER: 0
; COMPUTE_PGM_RSRC2:TGID_X_EN: 1
; COMPUTE_PGM_RSRC2:TGID_Y_EN: 1
; COMPUTE_PGM_RSRC2:TGID_Z_EN: 0
; COMPUTE_PGM_RSRC2:TIDIG_COMP_CNT: 1
; COMPUTE_PGM_RSRC3_GFX90A:ACCUM_OFFSET: 6
; COMPUTE_PGM_RSRC3_GFX90A:TG_SPLIT: 0
	.text
	.p2alignl 6, 3212836864
	.fill 256, 4, 3212836864
	.type	__hip_cuid_37c0ef739e0e1251,@object ; @__hip_cuid_37c0ef739e0e1251
	.section	.bss,"aw",@nobits
	.globl	__hip_cuid_37c0ef739e0e1251
__hip_cuid_37c0ef739e0e1251:
	.byte	0                               ; 0x0
	.size	__hip_cuid_37c0ef739e0e1251, 1

	.ident	"AMD clang version 19.0.0git (https://github.com/RadeonOpenCompute/llvm-project roc-6.4.0 25133 c7fe45cf4b819c5991fe208aaa96edf142730f1d)"
	.section	".note.GNU-stack","",@progbits
	.addrsig
	.addrsig_sym __hip_cuid_37c0ef739e0e1251
	.amdgpu_metadata
---
amdhsa.kernels:
  - .agpr_count:     0
    .args:
      - .offset:         0
        .size:           4
        .value_kind:     by_value
      - .offset:         4
        .size:           4
        .value_kind:     by_value
      - .offset:         8
        .size:           4
        .value_kind:     by_value
      - .address_space:  global
        .offset:         16
        .size:           8
        .value_kind:     global_buffer
      - .address_space:  global
        .offset:         24
        .size:           8
        .value_kind:     global_buffer
      - .address_space:  global
        .offset:         32
        .size:           8
        .value_kind:     global_buffer
      - .address_space:  global
        .offset:         40
        .size:           8
        .value_kind:     global_buffer
      - .offset:         48
        .size:           4
        .value_kind:     by_value
      - .offset:         52
        .size:           4
        .value_kind:     by_value
      - .offset:         56
        .size:           4
        .value_kind:     by_value
      - .offset:         60
        .size:           4
        .value_kind:     by_value
      - .offset:         64
        .size:           4
        .value_kind:     by_value
      - .offset:         68
        .size:           4
        .value_kind:     by_value
      - .offset:         72
        .size:           4
        .value_kind:     hidden_block_count_x
      - .offset:         76
        .size:           4
        .value_kind:     hidden_block_count_y
      - .offset:         80
        .size:           4
        .value_kind:     hidden_block_count_z
      - .offset:         84
        .size:           2
        .value_kind:     hidden_group_size_x
      - .offset:         86
        .size:           2
        .value_kind:     hidden_group_size_y
      - .offset:         88
        .size:           2
        .value_kind:     hidden_group_size_z
      - .offset:         90
        .size:           2
        .value_kind:     hidden_remainder_x
      - .offset:         92
        .size:           2
        .value_kind:     hidden_remainder_y
      - .offset:         94
        .size:           2
        .value_kind:     hidden_remainder_z
      - .offset:         112
        .size:           8
        .value_kind:     hidden_global_offset_x
      - .offset:         120
        .size:           8
        .value_kind:     hidden_global_offset_y
      - .offset:         128
        .size:           8
        .value_kind:     hidden_global_offset_z
      - .offset:         136
        .size:           2
        .value_kind:     hidden_grid_dims
    .group_segment_fixed_size: 0
    .kernarg_segment_align: 8
    .kernarg_segment_size: 328
    .language:       OpenCL C
    .language_version:
      - 2
      - 0
    .max_flat_workgroup_size: 1024
    .name:           _Z15sgemm_rocwmma_djjjPKfS0_S0_Pfjjjjff
    .private_segment_fixed_size: 0
    .sgpr_count:     24
    .sgpr_spill_count: 0
    .symbol:         _Z15sgemm_rocwmma_djjjPKfS0_S0_Pfjjjjff.kd
    .uniform_work_group_size: 1
    .uses_dynamic_stack: false
    .vgpr_count:     26
    .vgpr_spill_count: 0
    .wavefront_size: 64
amdhsa.target:   amdgcn-amd-amdhsa--gfx90a
amdhsa.version:
  - 1
  - 2
...

	.end_amdgpu_metadata
